;; amdgpu-corpus repo=ROCm/rocFFT kind=compiled arch=gfx906 opt=O3
	.text
	.amdgcn_target "amdgcn-amd-amdhsa--gfx906"
	.amdhsa_code_object_version 6
	.protected	bluestein_single_fwd_len350_dim1_sp_op_CI_CI ; -- Begin function bluestein_single_fwd_len350_dim1_sp_op_CI_CI
	.globl	bluestein_single_fwd_len350_dim1_sp_op_CI_CI
	.p2align	8
	.type	bluestein_single_fwd_len350_dim1_sp_op_CI_CI,@function
bluestein_single_fwd_len350_dim1_sp_op_CI_CI: ; @bluestein_single_fwd_len350_dim1_sp_op_CI_CI
; %bb.0:
	s_load_dwordx4 s[8:11], s[4:5], 0x28
	v_mul_u32_u24_e32 v1, 0x51f, v0
	v_add_u32_sdwa v50, s6, v1 dst_sel:DWORD dst_unused:UNUSED_PAD src0_sel:DWORD src1_sel:WORD_1
	v_mov_b32_e32 v51, 0
	s_waitcnt lgkmcnt(0)
	v_cmp_gt_u64_e32 vcc, s[8:9], v[50:51]
	s_and_saveexec_b64 s[0:1], vcc
	s_cbranch_execz .LBB0_23
; %bb.1:
	s_load_dwordx4 s[12:15], s[4:5], 0x18
	v_mov_b32_e32 v2, 50
	v_mul_lo_u16_sdwa v1, v1, v2 dst_sel:DWORD dst_unused:UNUSED_PAD src0_sel:WORD_1 src1_sel:DWORD
	v_sub_u16_e32 v64, v0, v1
	v_lshlrev_b32_e32 v63, 3, v64
	s_waitcnt lgkmcnt(0)
	s_load_dwordx4 s[0:3], s[12:13], 0x0
	s_waitcnt lgkmcnt(0)
	v_mad_u64_u32 v[0:1], s[6:7], s2, v50, 0
	v_mad_u64_u32 v[2:3], s[6:7], s0, v64, 0
	s_load_dwordx2 s[12:13], s[4:5], 0x0
	v_mad_u64_u32 v[4:5], s[2:3], s3, v50, v[1:2]
	s_waitcnt lgkmcnt(0)
	global_load_dwordx2 v[57:58], v63, s[12:13]
	v_mad_u64_u32 v[5:6], s[2:3], s1, v64, v[3:4]
	v_mov_b32_e32 v1, v4
	v_lshlrev_b64 v[0:1], 3, v[0:1]
	v_mov_b32_e32 v6, s11
	v_mov_b32_e32 v3, v5
	v_add_co_u32_e32 v4, vcc, s10, v0
	v_addc_co_u32_e32 v5, vcc, v6, v1, vcc
	v_lshlrev_b64 v[0:1], 3, v[2:3]
	s_mul_i32 s2, s1, 0x46
	s_mul_hi_u32 s3, s0, 0x46
	v_add_co_u32_e32 v0, vcc, v4, v0
	s_add_i32 s3, s3, s2
	s_mul_i32 s2, s0, 0x46
	v_addc_co_u32_e32 v1, vcc, v5, v1, vcc
	s_lshl_b64 s[2:3], s[2:3], 3
	global_load_dwordx2 v[2:3], v[0:1], off
	v_mov_b32_e32 v10, s3
	v_add_co_u32_e32 v0, vcc, s2, v0
	v_addc_co_u32_e32 v1, vcc, v1, v10, vcc
	v_add_co_u32_e32 v4, vcc, s2, v0
	v_addc_co_u32_e32 v5, vcc, v1, v10, vcc
	global_load_dwordx2 v[6:7], v[0:1], off
	global_load_dwordx2 v[8:9], v[4:5], off
	global_load_dwordx2 v[59:60], v63, s[12:13] offset:560
	global_load_dwordx2 v[55:56], v63, s[12:13] offset:1120
	v_add_co_u32_e32 v0, vcc, s2, v4
	v_addc_co_u32_e32 v1, vcc, v5, v10, vcc
	global_load_dwordx2 v[4:5], v[0:1], off
	global_load_dwordx2 v[53:54], v63, s[12:13] offset:1680
	v_add_co_u32_e32 v0, vcc, s2, v0
	v_addc_co_u32_e32 v1, vcc, v1, v10, vcc
	global_load_dwordx2 v[51:52], v63, s[12:13] offset:2240
	global_load_dwordx2 v[10:11], v[0:1], off
	v_mov_b32_e32 v12, s13
	v_add_co_u32_e32 v48, vcc, s12, v63
	v_addc_co_u32_e32 v49, vcc, 0, v12, vcc
	s_load_dwordx2 s[6:7], s[4:5], 0x38
	s_load_dwordx4 s[8:11], s[14:15], 0x0
	v_cmp_gt_u16_e32 vcc, 20, v64
	s_waitcnt vmcnt(8)
	v_mul_f32_e32 v12, v3, v58
	v_mul_f32_e32 v13, v2, v58
	v_fmac_f32_e32 v12, v2, v57
	v_fma_f32 v13, v3, v57, -v13
	s_waitcnt vmcnt(5)
	v_mul_f32_e32 v2, v7, v60
	v_mul_f32_e32 v3, v6, v60
	v_fmac_f32_e32 v2, v6, v59
	v_fma_f32 v3, v7, v59, -v3
	ds_write2_b64 v63, v[12:13], v[2:3] offset1:70
	s_waitcnt vmcnt(4)
	v_mul_f32_e32 v6, v9, v56
	s_waitcnt vmcnt(2)
	v_mul_f32_e32 v2, v5, v54
	v_mul_f32_e32 v3, v4, v54
	;; [unrolled: 1-line block ×3, first 2 shown]
	v_fmac_f32_e32 v2, v4, v53
	v_fma_f32 v3, v5, v53, -v3
	s_waitcnt vmcnt(0)
	v_mul_f32_e32 v4, v11, v52
	v_mul_f32_e32 v5, v10, v52
	v_fmac_f32_e32 v6, v8, v55
	v_fma_f32 v7, v9, v55, -v7
	v_fmac_f32_e32 v4, v10, v51
	v_fma_f32 v5, v11, v51, -v5
	ds_write2_b64 v63, v[6:7], v[2:3] offset0:140 offset1:210
	ds_write_b64 v63, v[4:5] offset:2240
	s_and_saveexec_b64 s[14:15], vcc
	s_cbranch_execz .LBB0_3
; %bb.2:
	v_mov_b32_e32 v2, 0xfffff8d0
	v_mad_u64_u32 v[0:1], s[16:17], s0, v2, v[0:1]
	s_mulk_i32 s1, 0xf8d0
	s_sub_i32 s0, s1, s0
	v_add_u32_e32 v1, s0, v1
	global_load_dwordx2 v[2:3], v[0:1], off
	global_load_dwordx2 v[4:5], v[48:49], off offset:400
	v_mov_b32_e32 v18, s3
	v_add_co_u32_e64 v0, s[0:1], s2, v0
	v_addc_co_u32_e64 v1, s[0:1], v1, v18, s[0:1]
	global_load_dwordx2 v[6:7], v[0:1], off
	v_add_co_u32_e64 v0, s[0:1], s2, v0
	v_addc_co_u32_e64 v1, s[0:1], v1, v18, s[0:1]
	global_load_dwordx2 v[8:9], v[0:1], off
	global_load_dwordx2 v[10:11], v[48:49], off offset:960
	global_load_dwordx2 v[12:13], v[48:49], off offset:1520
	v_add_co_u32_e64 v0, s[0:1], s2, v0
	v_addc_co_u32_e64 v1, s[0:1], v1, v18, s[0:1]
	global_load_dwordx2 v[14:15], v[0:1], off
	global_load_dwordx2 v[16:17], v[48:49], off offset:2080
	v_add_co_u32_e64 v0, s[0:1], s2, v0
	v_addc_co_u32_e64 v1, s[0:1], v1, v18, s[0:1]
	global_load_dwordx2 v[18:19], v[48:49], off offset:2640
	global_load_dwordx2 v[20:21], v[0:1], off
	v_add_u32_e32 v22, 0x400, v63
	s_waitcnt vmcnt(8)
	v_mul_f32_e32 v0, v3, v5
	v_mul_f32_e32 v1, v2, v5
	v_fmac_f32_e32 v0, v2, v4
	v_fma_f32 v1, v3, v4, -v1
	s_waitcnt vmcnt(5)
	v_mul_f32_e32 v2, v7, v11
	v_mul_f32_e32 v3, v6, v11
	v_fmac_f32_e32 v2, v6, v10
	v_fma_f32 v3, v7, v10, -v3
	s_waitcnt vmcnt(4)
	v_mul_f32_e32 v4, v9, v13
	v_mul_f32_e32 v5, v8, v13
	ds_write2_b64 v63, v[0:1], v[2:3] offset0:50 offset1:120
	s_waitcnt vmcnt(2)
	v_mul_f32_e32 v0, v15, v17
	v_mul_f32_e32 v1, v14, v17
	v_fmac_f32_e32 v4, v8, v12
	v_fma_f32 v5, v9, v12, -v5
	s_waitcnt vmcnt(0)
	v_mul_f32_e32 v2, v21, v19
	v_mul_f32_e32 v3, v20, v19
	v_fmac_f32_e32 v0, v14, v16
	v_fma_f32 v1, v15, v16, -v1
	v_fmac_f32_e32 v2, v20, v18
	v_fma_f32 v3, v21, v18, -v3
	ds_write2_b64 v22, v[4:5], v[0:1] offset0:62 offset1:132
	ds_write_b64 v63, v[2:3] offset:2640
.LBB0_3:
	s_or_b64 exec, exec, s[14:15]
	s_waitcnt lgkmcnt(0)
	; wave barrier
	s_waitcnt lgkmcnt(0)
	ds_read2_b64 v[8:11], v63 offset1:70
	ds_read2_b64 v[12:15], v63 offset0:140 offset1:210
	ds_read_b64 v[18:19], v63 offset:2240
	s_load_dwordx2 s[2:3], s[4:5], 0x8
                                        ; implicit-def: $vgpr0
                                        ; implicit-def: $vgpr4
                                        ; implicit-def: $vgpr16
	s_and_saveexec_b64 s[0:1], vcc
	s_cbranch_execz .LBB0_5
; %bb.4:
	v_add_u32_e32 v4, 0x400, v63
	ds_read2_b64 v[0:3], v63 offset0:50 offset1:120
	ds_read2_b64 v[4:7], v4 offset0:62 offset1:132
	ds_read_b64 v[16:17], v63 offset:2640
.LBB0_5:
	s_or_b64 exec, exec, s[0:1]
	s_waitcnt lgkmcnt(0)
	v_add_f32_e32 v21, v12, v14
	v_fma_f32 v22, -0.5, v21, v8
	v_sub_f32_e32 v21, v11, v19
	v_mov_b32_e32 v24, v22
	v_fmac_f32_e32 v24, 0x3f737871, v21
	v_sub_f32_e32 v23, v13, v15
	v_sub_f32_e32 v25, v10, v12
	;; [unrolled: 1-line block ×3, first 2 shown]
	v_fmac_f32_e32 v22, 0xbf737871, v21
	v_fmac_f32_e32 v24, 0x3f167918, v23
	v_add_f32_e32 v25, v25, v26
	v_fmac_f32_e32 v22, 0xbf167918, v23
	v_fmac_f32_e32 v24, 0x3e9e377a, v25
	;; [unrolled: 1-line block ×3, first 2 shown]
	v_add_f32_e32 v25, v10, v18
	v_fma_f32 v26, -0.5, v25, v8
	v_mov_b32_e32 v28, v26
	v_add_f32_e32 v20, v8, v10
	v_fmac_f32_e32 v28, 0xbf737871, v23
	v_sub_f32_e32 v8, v12, v10
	v_sub_f32_e32 v25, v14, v18
	v_fmac_f32_e32 v26, 0x3f737871, v23
	v_fmac_f32_e32 v28, 0x3f167918, v21
	v_add_f32_e32 v8, v8, v25
	v_fmac_f32_e32 v26, 0xbf167918, v21
	v_fmac_f32_e32 v28, 0x3e9e377a, v8
	;; [unrolled: 1-line block ×3, first 2 shown]
	v_add_f32_e32 v8, v9, v11
	v_add_f32_e32 v8, v8, v13
	;; [unrolled: 1-line block ×5, first 2 shown]
	v_fma_f32 v23, -0.5, v8, v9
	v_add_f32_e32 v20, v20, v12
	v_sub_f32_e32 v8, v10, v18
	v_mov_b32_e32 v25, v23
	v_add_f32_e32 v20, v20, v14
	v_fmac_f32_e32 v25, 0xbf737871, v8
	v_sub_f32_e32 v10, v12, v14
	v_sub_f32_e32 v12, v11, v13
	;; [unrolled: 1-line block ×3, first 2 shown]
	v_fmac_f32_e32 v23, 0x3f737871, v8
	v_fmac_f32_e32 v25, 0xbf167918, v10
	v_add_f32_e32 v12, v12, v14
	v_fmac_f32_e32 v23, 0x3f167918, v10
	v_fmac_f32_e32 v25, 0x3e9e377a, v12
	;; [unrolled: 1-line block ×3, first 2 shown]
	v_add_f32_e32 v12, v11, v19
	v_fma_f32 v27, -0.5, v12, v9
	v_sub_f32_e32 v9, v13, v11
	v_sub_f32_e32 v11, v15, v19
	v_add_f32_e32 v9, v9, v11
	v_sub_f32_e32 v11, v2, v4
	v_sub_f32_e32 v12, v16, v6
	v_mov_b32_e32 v29, v27
	v_add_f32_e32 v11, v11, v12
	v_add_f32_e32 v12, v2, v16
	v_fmac_f32_e32 v29, 0x3f737871, v10
	v_fmac_f32_e32 v27, 0xbf737871, v10
	v_fma_f32 v32, -0.5, v12, v0
	v_fmac_f32_e32 v29, 0xbf167918, v8
	v_fmac_f32_e32 v27, 0x3f167918, v8
	v_sub_f32_e32 v10, v5, v7
	v_mov_b32_e32 v38, v32
	v_fmac_f32_e32 v29, 0x3e9e377a, v9
	v_fmac_f32_e32 v27, 0x3e9e377a, v9
	v_sub_f32_e32 v9, v3, v17
	v_fmac_f32_e32 v38, 0xbf737871, v10
	v_sub_f32_e32 v12, v4, v2
	v_sub_f32_e32 v13, v6, v16
	v_fmac_f32_e32 v32, 0x3f737871, v10
	v_fmac_f32_e32 v38, 0x3f167918, v9
	v_add_f32_e32 v12, v12, v13
	v_fmac_f32_e32 v32, 0xbf167918, v9
	v_sub_f32_e32 v14, v3, v5
	v_sub_f32_e32 v15, v17, v7
	v_add_f32_e32 v8, v4, v6
	v_fmac_f32_e32 v38, 0x3e9e377a, v12
	v_fmac_f32_e32 v32, 0x3e9e377a, v12
	v_add_f32_e32 v12, v5, v7
	v_add_f32_e32 v14, v14, v15
	;; [unrolled: 1-line block ×4, first 2 shown]
	v_fma_f32 v8, -0.5, v8, v0
	v_fma_f32 v12, -0.5, v12, v1
	v_mul_lo_u16_e32 v13, 5, v64
	v_fma_f32 v33, -0.5, v15, v1
	v_sub_f32_e32 v15, v5, v3
	v_sub_f32_e32 v18, v7, v17
	v_mov_b32_e32 v34, v8
	v_lshlrev_b32_e32 v65, 3, v13
	v_sub_f32_e32 v13, v2, v16
	v_add_f32_e32 v18, v15, v18
	v_sub_f32_e32 v15, v4, v6
	v_mov_b32_e32 v35, v12
	v_mov_b32_e32 v39, v33
	v_fmac_f32_e32 v34, 0xbf737871, v9
	v_fmac_f32_e32 v35, 0x3f737871, v13
	;; [unrolled: 1-line block ×4, first 2 shown]
	v_add_co_u32_e64 v30, s[0:1], 50, v64
	v_fmac_f32_e32 v34, 0xbf167918, v10
	v_fmac_f32_e32 v35, 0x3f167918, v15
	;; [unrolled: 1-line block ×8, first 2 shown]
	v_mul_u32_u24_e32 v66, 5, v30
	s_waitcnt lgkmcnt(0)
	; wave barrier
	ds_write2_b64 v65, v[20:21], v[24:25] offset1:1
	ds_write2_b64 v65, v[28:29], v[26:27] offset0:2 offset1:3
	ds_write_b64 v65, v[22:23] offset:32
	s_and_saveexec_b64 s[0:1], vcc
	s_cbranch_execz .LBB0_7
; %bb.6:
	v_mul_f32_e32 v18, 0x3f737871, v9
	v_mul_f32_e32 v9, 0x3f737871, v13
	v_add_f32_e32 v1, v1, v3
	v_add_f32_e32 v0, v0, v2
	v_mul_f32_e32 v10, 0x3f167918, v10
	v_mul_f32_e32 v13, 0x3f167918, v15
	v_sub_f32_e32 v9, v12, v9
	v_add_f32_e32 v1, v1, v5
	v_add_f32_e32 v3, v8, v18
	;; [unrolled: 1-line block ×3, first 2 shown]
	v_mul_f32_e32 v11, 0x3e9e377a, v11
	v_mul_f32_e32 v14, 0x3e9e377a, v14
	v_sub_f32_e32 v9, v9, v13
	v_add_f32_e32 v1, v1, v7
	v_add_f32_e32 v3, v10, v3
	;; [unrolled: 1-line block ×7, first 2 shown]
	v_lshlrev_b32_e32 v2, 3, v66
	ds_write2_b64 v2, v[0:1], v[8:9] offset1:1
	ds_write2_b64 v2, v[38:39], v[32:33] offset0:2 offset1:3
	ds_write_b64 v2, v[34:35] offset:32
.LBB0_7:
	s_or_b64 exec, exec, s[0:1]
	s_movk_i32 s0, 0xcd
	v_mul_lo_u16_sdwa v0, v64, s0 dst_sel:DWORD dst_unused:UNUSED_PAD src0_sel:BYTE_0 src1_sel:DWORD
	v_lshrrev_b16_e32 v26, 10, v0
	v_mul_lo_u16_e32 v0, 5, v26
	v_sub_u16_e32 v0, v64, v0
	v_and_b32_e32 v27, 0xff, v0
	v_mul_u32_u24_e32 v0, 6, v27
	v_lshlrev_b32_e32 v12, 3, v0
	s_waitcnt lgkmcnt(0)
	; wave barrier
	s_waitcnt lgkmcnt(0)
	global_load_dwordx4 v[8:11], v12, s[2:3]
	global_load_dwordx4 v[4:7], v12, s[2:3] offset:16
	global_load_dwordx4 v[0:3], v12, s[2:3] offset:32
	ds_read2_b64 v[12:15], v63 offset1:50
	ds_read2_b64 v[16:19], v63 offset0:100 offset1:150
	ds_read2_b64 v[20:23], v63 offset0:200 offset1:250
	ds_read_b64 v[24:25], v63 offset:2400
	s_mov_b32 s1, 0x3f3bfb3b
	s_mov_b32 s4, 0xbf3bfb3b
	;; [unrolled: 1-line block ×3, first 2 shown]
	s_waitcnt lgkmcnt(0)
	; wave barrier
	s_waitcnt vmcnt(2) lgkmcnt(0)
	v_mul_f32_e32 v28, v15, v9
	v_mul_f32_e32 v29, v14, v9
	;; [unrolled: 1-line block ×3, first 2 shown]
	s_waitcnt vmcnt(1)
	v_mul_f32_e32 v36, v19, v5
	v_mul_f32_e32 v37, v18, v5
	s_waitcnt vmcnt(0)
	v_mul_f32_e32 v42, v23, v1
	v_mul_f32_e32 v44, v25, v3
	;; [unrolled: 1-line block ×7, first 2 shown]
	v_fma_f32 v14, v14, v8, -v28
	v_fmac_f32_e32 v29, v15, v8
	v_fma_f32 v15, v16, v10, -v30
	v_fma_f32 v16, v18, v4, -v36
	v_fmac_f32_e32 v37, v19, v4
	v_fma_f32 v18, v22, v0, -v42
	v_fma_f32 v19, v24, v2, -v44
	v_fmac_f32_e32 v31, v17, v10
	v_fma_f32 v17, v20, v6, -v40
	v_fmac_f32_e32 v41, v21, v6
	v_fmac_f32_e32 v43, v23, v0
	;; [unrolled: 1-line block ×3, first 2 shown]
	v_add_f32_e32 v20, v14, v19
	v_add_f32_e32 v22, v15, v18
	;; [unrolled: 1-line block ×4, first 2 shown]
	v_sub_f32_e32 v15, v15, v18
	v_add_f32_e32 v24, v16, v17
	v_add_f32_e32 v25, v37, v41
	v_sub_f32_e32 v16, v17, v16
	v_add_f32_e32 v28, v22, v20
	v_sub_f32_e32 v14, v14, v19
	v_sub_f32_e32 v19, v29, v45
	;; [unrolled: 1-line block ×4, first 2 shown]
	v_add_f32_e32 v29, v23, v21
	v_sub_f32_e32 v30, v22, v20
	v_sub_f32_e32 v31, v23, v21
	;; [unrolled: 1-line block ×5, first 2 shown]
	v_add_f32_e32 v36, v16, v15
	v_add_f32_e32 v24, v24, v28
	v_sub_f32_e32 v23, v25, v23
	v_add_f32_e32 v37, v17, v18
	v_sub_f32_e32 v40, v16, v15
	v_sub_f32_e32 v41, v17, v18
	;; [unrolled: 1-line block ×4, first 2 shown]
	v_add_f32_e32 v25, v25, v29
	v_add_f32_e32 v14, v36, v14
	v_mul_f32_e32 v20, 0x3f4a47b2, v20
	v_mul_f32_e32 v21, 0x3f4a47b2, v21
	;; [unrolled: 1-line block ×3, first 2 shown]
	v_add_f32_e32 v28, v12, v24
	v_sub_f32_e32 v17, v19, v17
	v_sub_f32_e32 v18, v18, v19
	v_add_f32_e32 v19, v37, v19
	v_mul_f32_e32 v37, 0x3d64c772, v23
	v_mul_f32_e32 v61, 0xbf08b237, v40
	;; [unrolled: 1-line block ×3, first 2 shown]
	v_add_f32_e32 v29, v13, v25
	v_fma_f32 v12, v30, s1, -v36
	v_fma_f32 v30, v30, s4, -v20
	v_fmac_f32_e32 v20, 0x3d64c772, v22
	v_fma_f32 v22, v31, s4, -v21
	v_fmac_f32_e32 v21, 0x3d64c772, v23
	v_mov_b32_e32 v23, v28
	v_mul_f32_e32 v40, 0x3f5ff5aa, v15
	v_mul_f32_e32 v41, 0x3f5ff5aa, v18
	v_fma_f32 v13, v31, s1, -v37
	v_mov_b32_e32 v31, v29
	v_fmac_f32_e32 v23, 0xbf955555, v24
	v_fma_f32 v15, v15, s0, -v61
	v_fma_f32 v18, v18, s0, -v62
	s_mov_b32 s0, 0xbeae86e6
	v_fmac_f32_e32 v31, 0xbf955555, v25
	v_fmac_f32_e32 v61, 0x3eae86e6, v16
	;; [unrolled: 1-line block ×3, first 2 shown]
	v_fma_f32 v16, v16, s0, -v40
	v_fma_f32 v17, v17, s0, -v41
	v_add_f32_e32 v12, v12, v23
	v_fmac_f32_e32 v18, 0x3ee1c552, v19
	v_add_f32_e32 v20, v20, v23
	v_add_f32_e32 v21, v21, v31
	;; [unrolled: 1-line block ×5, first 2 shown]
	v_fmac_f32_e32 v61, 0x3ee1c552, v14
	v_fmac_f32_e32 v62, 0x3ee1c552, v19
	;; [unrolled: 1-line block ×5, first 2 shown]
	v_sub_f32_e32 v42, v12, v18
	v_add_f32_e32 v44, v18, v12
	v_mul_u32_u24_e32 v12, 35, v26
	v_add_f32_e32 v30, v62, v20
	v_sub_f32_e32 v31, v21, v61
	v_add_f32_e32 v40, v17, v23
	v_sub_f32_e32 v41, v22, v16
	;; [unrolled: 2-line block ×3, first 2 shown]
	v_sub_f32_e32 v46, v23, v17
	v_add_f32_e32 v47, v16, v22
	v_sub_f32_e32 v36, v20, v62
	v_add_f32_e32 v37, v61, v21
	v_add_lshl_u32 v67, v12, v27, 3
	v_cmp_gt_u16_e64 s[0:1], 35, v64
	ds_write2_b64 v67, v[28:29], v[30:31] offset1:5
	ds_write2_b64 v67, v[40:41], v[42:43] offset0:10 offset1:15
	ds_write2_b64 v67, v[44:45], v[46:47] offset0:20 offset1:25
	ds_write_b64 v67, v[36:37] offset:240
	s_waitcnt lgkmcnt(0)
	; wave barrier
	s_waitcnt lgkmcnt(0)
	s_and_saveexec_b64 s[4:5], s[0:1]
	s_cbranch_execz .LBB0_9
; %bb.8:
	v_add_u32_e32 v12, 0x800, v63
	ds_read2_b64 v[28:31], v63 offset1:35
	ds_read2_b64 v[36:39], v63 offset0:210 offset1:245
	ds_read2_b64 v[32:35], v12 offset0:24 offset1:59
	;; [unrolled: 1-line block ×4, first 2 shown]
.LBB0_9:
	s_or_b64 exec, exec, s[4:5]
	v_subrev_u32_e32 v12, 35, v64
	v_cndmask_b32_e64 v12, v12, v64, s[0:1]
	v_mul_hi_i32_i24_e32 v13, 0x48, v12
	v_mul_i32_i24_e32 v12, 0x48, v12
	v_mov_b32_e32 v14, s3
	v_add_co_u32_e64 v68, s[2:3], s2, v12
	v_addc_co_u32_e64 v69, s[2:3], v14, v13, s[2:3]
	global_load_dwordx4 v[12:15], v[68:69], off offset:240
	global_load_dwordx4 v[24:27], v[68:69], off offset:256
	;; [unrolled: 1-line block ×4, first 2 shown]
	global_load_dwordx2 v[61:62], v[68:69], off offset:304
	s_mov_b32 s2, 0x3f737871
	s_mov_b32 s3, 0x3f167918
	;; [unrolled: 1-line block ×4, first 2 shown]
	s_waitcnt vmcnt(4) lgkmcnt(4)
	v_mul_f32_e32 v68, v31, v13
	s_waitcnt vmcnt(3) lgkmcnt(0)
	v_mul_f32_e32 v73, v45, v27
	s_waitcnt vmcnt(2)
	v_mul_f32_e32 v78, v37, v23
	v_mul_f32_e32 v76, v30, v13
	;; [unrolled: 1-line block ×4, first 2 shown]
	s_waitcnt vmcnt(1)
	v_mul_f32_e32 v82, v33, v19
	s_waitcnt vmcnt(0)
	v_mul_f32_e32 v85, v34, v62
	v_fma_f32 v30, v30, v12, -v68
	v_fma_f32 v68, v44, v26, -v73
	;; [unrolled: 1-line block ×3, first 2 shown]
	v_mul_f32_e32 v70, v40, v15
	v_mul_f32_e32 v74, v44, v27
	;; [unrolled: 1-line block ×6, first 2 shown]
	v_fmac_f32_e32 v76, v31, v12
	v_fma_f32 v31, v40, v14, -v69
	v_fma_f32 v32, v32, v18, -v82
	v_fmac_f32_e32 v85, v35, v61
	v_add_f32_e32 v35, v68, v36
	v_fmac_f32_e32 v70, v41, v14
	v_fmac_f32_e32 v74, v45, v26
	;; [unrolled: 1-line block ×3, first 2 shown]
	v_fma_f32 v37, v38, v16, -v80
	v_fmac_f32_e32 v81, v39, v16
	v_fmac_f32_e32 v83, v33, v18
	v_sub_f32_e32 v39, v31, v68
	v_sub_f32_e32 v40, v32, v36
	v_fma_f32 v38, -0.5, v35, v28
	v_mul_f32_e32 v71, v43, v25
	v_mul_f32_e32 v72, v42, v25
	v_mul_f32_e32 v77, v46, v21
	v_fma_f32 v33, v34, v61, -v84
	v_add_f32_e32 v34, v28, v31
	v_sub_f32_e32 v45, v70, v83
	v_add_f32_e32 v41, v31, v32
	v_add_f32_e32 v69, v74, v79
	;; [unrolled: 1-line block ×3, first 2 shown]
	v_mov_b32_e32 v39, v38
	v_mul_f32_e32 v75, v47, v21
	v_fma_f32 v71, v42, v24, -v71
	v_fmac_f32_e32 v72, v43, v24
	v_fmac_f32_e32 v77, v47, v20
	v_sub_f32_e32 v47, v74, v79
	v_sub_f32_e32 v42, v68, v31
	;; [unrolled: 1-line block ×3, first 2 shown]
	v_add_f32_e32 v44, v29, v70
	v_add_f32_e32 v34, v34, v68
	v_fmac_f32_e32 v28, -0.5, v41
	v_fma_f32 v41, -0.5, v69, v29
	v_fmac_f32_e32 v38, 0xbf737871, v45
	v_fmac_f32_e32 v39, 0x3f737871, v45
	v_sub_f32_e32 v31, v31, v32
	v_add_f32_e32 v73, v42, v43
	v_add_f32_e32 v42, v44, v74
	;; [unrolled: 1-line block ×3, first 2 shown]
	v_mov_b32_e32 v43, v41
	v_fmac_f32_e32 v38, 0xbf167918, v47
	v_fmac_f32_e32 v39, 0x3f167918, v47
	v_add_f32_e32 v44, v42, v79
	v_add_f32_e32 v42, v34, v32
	v_fmac_f32_e32 v38, 0x3e9e377a, v35
	v_fmac_f32_e32 v39, 0x3e9e377a, v35
	;; [unrolled: 1-line block ×3, first 2 shown]
	v_sub_f32_e32 v32, v68, v36
	v_sub_f32_e32 v34, v70, v74
	;; [unrolled: 1-line block ×3, first 2 shown]
	v_fmac_f32_e32 v41, 0x3f737871, v31
	v_fmac_f32_e32 v43, 0xbf167918, v32
	v_add_f32_e32 v34, v34, v35
	v_fmac_f32_e32 v41, 0x3f167918, v32
	v_mov_b32_e32 v40, v28
	v_fmac_f32_e32 v43, 0x3e9e377a, v34
	v_fmac_f32_e32 v41, 0x3e9e377a, v34
	v_add_f32_e32 v34, v70, v83
	v_fmac_f32_e32 v28, 0x3f737871, v47
	v_fmac_f32_e32 v40, 0xbf737871, v47
	v_fmac_f32_e32 v29, -0.5, v34
	v_fmac_f32_e32 v28, 0xbf167918, v45
	v_fmac_f32_e32 v40, 0x3f167918, v45
	v_mov_b32_e32 v45, v29
	v_fmac_f32_e32 v45, 0x3f737871, v32
	v_fmac_f32_e32 v29, 0xbf737871, v32
	v_fma_f32 v46, v46, v20, -v75
	v_fmac_f32_e32 v45, 0xbf167918, v31
	v_fmac_f32_e32 v29, 0x3f167918, v31
	v_add_f32_e32 v31, v30, v71
	v_add_f32_e32 v31, v31, v46
	;; [unrolled: 1-line block ×3, first 2 shown]
	v_sub_f32_e32 v34, v74, v70
	v_sub_f32_e32 v35, v79, v83
	v_add_f32_e32 v68, v31, v33
	v_add_f32_e32 v31, v46, v37
	;; [unrolled: 1-line block ×3, first 2 shown]
	v_fma_f32 v31, -0.5, v31, v30
	v_fmac_f32_e32 v45, 0x3e9e377a, v34
	v_fmac_f32_e32 v29, 0x3e9e377a, v34
	v_sub_f32_e32 v32, v72, v85
	v_mov_b32_e32 v34, v31
	v_fmac_f32_e32 v34, 0x3f737871, v32
	v_sub_f32_e32 v35, v77, v81
	v_sub_f32_e32 v36, v71, v46
	;; [unrolled: 1-line block ×3, first 2 shown]
	v_fmac_f32_e32 v31, 0xbf737871, v32
	v_fmac_f32_e32 v34, 0x3f167918, v35
	v_add_f32_e32 v36, v36, v47
	v_fmac_f32_e32 v31, 0xbf167918, v35
	v_fmac_f32_e32 v34, 0x3e9e377a, v36
	;; [unrolled: 1-line block ×3, first 2 shown]
	v_add_f32_e32 v36, v71, v33
	v_fmac_f32_e32 v30, -0.5, v36
	v_mov_b32_e32 v36, v30
	v_fmac_f32_e32 v36, 0xbf737871, v35
	v_fmac_f32_e32 v30, 0x3f737871, v35
	;; [unrolled: 1-line block ×4, first 2 shown]
	v_add_f32_e32 v32, v76, v72
	v_add_f32_e32 v32, v32, v77
	v_sub_f32_e32 v47, v46, v71
	v_sub_f32_e32 v69, v37, v33
	v_add_f32_e32 v32, v32, v81
	v_add_f32_e32 v47, v47, v69
	;; [unrolled: 1-line block ×4, first 2 shown]
	v_fma_f32 v32, -0.5, v32, v76
	v_sub_f32_e32 v33, v71, v33
	v_mov_b32_e32 v35, v32
	v_fmac_f32_e32 v36, 0x3e9e377a, v47
	v_fmac_f32_e32 v30, 0x3e9e377a, v47
	;; [unrolled: 1-line block ×3, first 2 shown]
	v_sub_f32_e32 v37, v46, v37
	v_sub_f32_e32 v46, v72, v77
	;; [unrolled: 1-line block ×3, first 2 shown]
	v_fmac_f32_e32 v32, 0x3f737871, v33
	v_fmac_f32_e32 v35, 0xbf167918, v37
	v_add_f32_e32 v46, v46, v47
	v_fmac_f32_e32 v32, 0x3f167918, v37
	v_fmac_f32_e32 v35, 0x3e9e377a, v46
	;; [unrolled: 1-line block ×3, first 2 shown]
	v_add_f32_e32 v46, v72, v85
	v_fmac_f32_e32 v76, -0.5, v46
	v_mov_b32_e32 v46, v76
	v_sub_f32_e32 v47, v77, v72
	v_sub_f32_e32 v70, v81, v85
	v_fmac_f32_e32 v76, 0xbf737871, v37
	v_fmac_f32_e32 v46, 0x3f737871, v37
	v_add_f32_e32 v47, v47, v70
	v_fmac_f32_e32 v76, 0x3f167918, v33
	v_fmac_f32_e32 v46, 0xbf167918, v33
	;; [unrolled: 1-line block ×3, first 2 shown]
	v_mul_f32_e32 v33, 0x3e9e377a, v30
	v_fma_f32 v72, v76, s2, -v33
	v_mul_f32_e32 v33, 0x3f4f1bbd, v31
	v_fmac_f32_e32 v28, 0x3e9e377a, v73
	v_fmac_f32_e32 v40, 0x3e9e377a, v73
	;; [unrolled: 1-line block ×3, first 2 shown]
	v_fma_f32 v73, v32, s3, -v33
	v_mul_f32_e32 v33, 0x3e9e377a, v76
	v_mul_f32_e32 v70, 0x3f167918, v35
	;; [unrolled: 1-line block ×5, first 2 shown]
	v_fma_f32 v76, v30, s4, -v33
	v_mul_f32_e32 v30, 0x3f4f1bbd, v32
	v_add_f32_e32 v44, v44, v83
	v_fmac_f32_e32 v70, 0x3f4f1bbd, v34
	v_fmac_f32_e32 v71, 0x3e9e377a, v36
	v_fmac_f32_e32 v74, 0x3f4f1bbd, v35
	v_fmac_f32_e32 v75, 0x3e9e377a, v46
	v_fma_f32 v77, v31, s5, -v30
	v_sub_f32_e32 v30, v42, v68
	v_sub_f32_e32 v32, v39, v70
	;; [unrolled: 1-line block ×10, first 2 shown]
	s_and_saveexec_b64 s[2:3], s[0:1]
	s_cbranch_execz .LBB0_11
; %bb.10:
	v_add_f32_e32 v77, v41, v77
	v_add_f32_e32 v41, v45, v75
	;; [unrolled: 1-line block ×10, first 2 shown]
	ds_write2_b64 v63, v[42:43], v[44:45] offset1:35
	ds_write2_b64 v63, v[40:41], v[28:29] offset0:70 offset1:105
	ds_write2_b64 v63, v[76:77], v[30:31] offset0:140 offset1:175
	;; [unrolled: 1-line block ×3, first 2 shown]
	v_add_u32_e32 v28, 0x800, v63
	ds_write2_b64 v28, v[36:37], v[46:47] offset0:24 offset1:59
.LBB0_11:
	s_or_b64 exec, exec, s[2:3]
	s_waitcnt lgkmcnt(0)
	; wave barrier
	s_waitcnt lgkmcnt(0)
	global_load_dwordx2 v[28:29], v[48:49], off offset:2800
	s_add_u32 s12, s12, 0xaf0
	s_addc_u32 s13, s13, 0
	global_load_dwordx2 v[42:43], v63, s[12:13] offset:560
	global_load_dwordx2 v[44:45], v63, s[12:13] offset:1120
	;; [unrolled: 1-line block ×4, first 2 shown]
	ds_read2_b64 v[38:41], v63 offset1:70
	s_waitcnt vmcnt(4) lgkmcnt(0)
	v_mul_f32_e32 v72, v39, v29
	v_mul_f32_e32 v73, v38, v29
	v_fma_f32 v72, v38, v28, -v72
	v_fmac_f32_e32 v73, v39, v28
	s_waitcnt vmcnt(3)
	v_mul_f32_e32 v28, v41, v43
	v_mul_f32_e32 v29, v40, v43
	v_fma_f32 v28, v40, v42, -v28
	v_fmac_f32_e32 v29, v41, v42
	ds_write2_b64 v63, v[72:73], v[28:29] offset1:70
	ds_read2_b64 v[38:41], v63 offset0:140 offset1:210
	ds_read_b64 v[28:29], v63 offset:2240
	s_waitcnt vmcnt(2) lgkmcnt(1)
	v_mul_f32_e32 v42, v39, v45
	v_mul_f32_e32 v43, v38, v45
	s_waitcnt vmcnt(1)
	v_mul_f32_e32 v72, v41, v69
	v_mul_f32_e32 v45, v40, v69
	s_waitcnt vmcnt(0) lgkmcnt(0)
	v_mul_f32_e32 v73, v29, v71
	v_mul_f32_e32 v69, v28, v71
	v_fma_f32 v42, v38, v44, -v42
	v_fmac_f32_e32 v43, v39, v44
	v_fma_f32 v44, v40, v68, -v72
	v_fmac_f32_e32 v45, v41, v68
	;; [unrolled: 2-line block ×3, first 2 shown]
	ds_write2_b64 v63, v[42:43], v[44:45] offset0:140 offset1:210
	ds_write_b64 v63, v[68:69] offset:2240
	s_and_saveexec_b64 s[4:5], vcc
	s_cbranch_execz .LBB0_13
; %bb.12:
	v_add_co_u32_e64 v28, s[2:3], s12, v63
	v_mov_b32_e32 v29, s13
	v_addc_co_u32_e64 v29, s[2:3], 0, v29, s[2:3]
	global_load_dwordx2 v[42:43], v[28:29], off offset:400
	ds_read2_b64 v[38:41], v63 offset0:50 offset1:120
	v_add_u32_e32 v68, 0x400, v63
	s_waitcnt vmcnt(0) lgkmcnt(0)
	v_mul_f32_e32 v44, v39, v43
	v_mul_f32_e32 v45, v38, v43
	v_fma_f32 v44, v38, v42, -v44
	v_fmac_f32_e32 v45, v39, v42
	global_load_dwordx2 v[38:39], v[28:29], off offset:960
	s_waitcnt vmcnt(0)
	v_mul_f32_e32 v42, v41, v39
	v_mul_f32_e32 v43, v40, v39
	v_fma_f32 v42, v40, v38, -v42
	v_fmac_f32_e32 v43, v41, v38
	ds_write2_b64 v63, v[44:45], v[42:43] offset0:50 offset1:120
	global_load_dwordx2 v[42:43], v[28:29], off offset:1520
	ds_read2_b64 v[38:41], v68 offset0:62 offset1:132
	s_waitcnt vmcnt(0) lgkmcnt(0)
	v_mul_f32_e32 v44, v39, v43
	v_mul_f32_e32 v45, v38, v43
	v_fma_f32 v44, v38, v42, -v44
	v_fmac_f32_e32 v45, v39, v42
	global_load_dwordx2 v[38:39], v[28:29], off offset:2080
	s_waitcnt vmcnt(0)
	v_mul_f32_e32 v42, v41, v39
	global_load_dwordx2 v[28:29], v[28:29], off offset:2640
	v_mul_f32_e32 v43, v40, v39
	v_fma_f32 v42, v40, v38, -v42
	v_fmac_f32_e32 v43, v41, v38
	ds_read_b64 v[38:39], v63 offset:2640
	ds_write2_b64 v68, v[44:45], v[42:43] offset0:62 offset1:132
	s_waitcnt vmcnt(0) lgkmcnt(1)
	v_mul_f32_e32 v40, v39, v29
	v_mul_f32_e32 v41, v38, v29
	v_fma_f32 v40, v38, v28, -v40
	v_fmac_f32_e32 v41, v39, v28
	ds_write_b64 v63, v[40:41] offset:2640
.LBB0_13:
	s_or_b64 exec, exec, s[4:5]
	s_waitcnt lgkmcnt(0)
	; wave barrier
	s_waitcnt lgkmcnt(0)
	ds_read2_b64 v[38:41], v63 offset1:70
	ds_read2_b64 v[42:45], v63 offset0:140 offset1:210
	ds_read_b64 v[28:29], v63 offset:2240
	s_and_saveexec_b64 s[2:3], vcc
	s_cbranch_execz .LBB0_15
; %bb.14:
	v_add_u32_e32 v34, 0x400, v63
	ds_read2_b64 v[30:33], v63 offset0:50 offset1:120
	ds_read2_b64 v[34:37], v34 offset0:62 offset1:132
	ds_read_b64 v[46:47], v63 offset:2640
.LBB0_15:
	s_or_b64 exec, exec, s[2:3]
	s_waitcnt lgkmcnt(2)
	v_add_f32_e32 v68, v38, v40
	s_waitcnt lgkmcnt(1)
	v_add_f32_e32 v68, v68, v42
	v_add_f32_e32 v68, v68, v44
	s_waitcnt lgkmcnt(0)
	v_add_f32_e32 v72, v68, v28
	v_add_f32_e32 v68, v42, v44
	v_fma_f32 v74, -0.5, v68, v38
	v_sub_f32_e32 v68, v41, v29
	v_mov_b32_e32 v76, v74
	v_fmac_f32_e32 v76, 0xbf737871, v68
	v_sub_f32_e32 v69, v43, v45
	v_sub_f32_e32 v70, v40, v42
	;; [unrolled: 1-line block ×3, first 2 shown]
	v_fmac_f32_e32 v74, 0x3f737871, v68
	v_fmac_f32_e32 v76, 0xbf167918, v69
	v_add_f32_e32 v70, v70, v71
	v_fmac_f32_e32 v74, 0x3f167918, v69
	v_fmac_f32_e32 v76, 0x3e9e377a, v70
	;; [unrolled: 1-line block ×3, first 2 shown]
	v_add_f32_e32 v70, v40, v28
	v_fma_f32 v78, -0.5, v70, v38
	v_mov_b32_e32 v80, v78
	v_fmac_f32_e32 v80, 0x3f737871, v69
	v_sub_f32_e32 v38, v42, v40
	v_sub_f32_e32 v70, v44, v28
	v_fmac_f32_e32 v78, 0xbf737871, v69
	v_fmac_f32_e32 v80, 0xbf167918, v68
	v_add_f32_e32 v38, v38, v70
	v_fmac_f32_e32 v78, 0x3f167918, v68
	v_fmac_f32_e32 v80, 0x3e9e377a, v38
	;; [unrolled: 1-line block ×3, first 2 shown]
	v_add_f32_e32 v38, v39, v41
	v_add_f32_e32 v38, v38, v43
	;; [unrolled: 1-line block ×5, first 2 shown]
	v_fma_f32 v75, -0.5, v38, v39
	v_sub_f32_e32 v28, v40, v28
	v_mov_b32_e32 v77, v75
	v_fmac_f32_e32 v77, 0x3f737871, v28
	v_sub_f32_e32 v38, v42, v44
	v_sub_f32_e32 v40, v41, v43
	v_sub_f32_e32 v42, v29, v45
	v_fmac_f32_e32 v75, 0xbf737871, v28
	v_fmac_f32_e32 v77, 0x3f167918, v38
	v_add_f32_e32 v40, v40, v42
	v_fmac_f32_e32 v75, 0xbf167918, v38
	v_fmac_f32_e32 v77, 0x3e9e377a, v40
	;; [unrolled: 1-line block ×3, first 2 shown]
	v_add_f32_e32 v40, v41, v29
	v_fma_f32 v79, -0.5, v40, v39
	v_mov_b32_e32 v81, v79
	v_sub_f32_e32 v39, v43, v41
	v_sub_f32_e32 v29, v45, v29
	v_fmac_f32_e32 v81, 0xbf737871, v38
	v_add_f32_e32 v29, v39, v29
	v_fmac_f32_e32 v79, 0x3f737871, v38
	v_sub_f32_e32 v38, v32, v34
	v_sub_f32_e32 v39, v46, v36
	v_add_f32_e32 v45, v38, v39
	v_add_f32_e32 v39, v32, v46
	v_fma_f32 v42, -0.5, v39, v30
	v_fmac_f32_e32 v81, 0x3f167918, v28
	v_fmac_f32_e32 v79, 0xbf167918, v28
	v_sub_f32_e32 v44, v35, v37
	v_mov_b32_e32 v40, v42
	v_fmac_f32_e32 v81, 0x3e9e377a, v29
	v_fmac_f32_e32 v79, 0x3e9e377a, v29
	v_sub_f32_e32 v29, v33, v47
	v_fmac_f32_e32 v40, 0x3f737871, v44
	v_sub_f32_e32 v39, v34, v32
	v_sub_f32_e32 v41, v36, v46
	v_fmac_f32_e32 v42, 0xbf737871, v44
	v_fmac_f32_e32 v40, 0xbf167918, v29
	v_add_f32_e32 v39, v39, v41
	v_fmac_f32_e32 v42, 0x3f167918, v29
	v_fmac_f32_e32 v40, 0x3e9e377a, v39
	;; [unrolled: 1-line block ×3, first 2 shown]
	v_add_f32_e32 v39, v35, v37
	v_fma_f32 v68, -0.5, v39, v31
	v_sub_f32_e32 v39, v33, v35
	v_sub_f32_e32 v41, v47, v37
	v_add_f32_e32 v28, v34, v36
	v_add_f32_e32 v71, v39, v41
	;; [unrolled: 1-line block ×3, first 2 shown]
	v_fma_f32 v28, -0.5, v28, v30
	v_fma_f32 v43, -0.5, v41, v31
	v_mov_b32_e32 v38, v28
	v_sub_f32_e32 v69, v32, v46
	v_sub_f32_e32 v70, v34, v36
	v_mov_b32_e32 v39, v68
	v_mov_b32_e32 v41, v43
	v_fmac_f32_e32 v38, 0x3f737871, v29
	v_fmac_f32_e32 v39, 0xbf737871, v69
	v_fmac_f32_e32 v41, 0xbf737871, v70
	v_sub_f32_e32 v82, v35, v33
	v_sub_f32_e32 v83, v37, v47
	v_fmac_f32_e32 v43, 0x3f737871, v70
	v_fmac_f32_e32 v38, 0x3f167918, v44
	;; [unrolled: 1-line block ×4, first 2 shown]
	v_add_f32_e32 v82, v82, v83
	v_fmac_f32_e32 v43, 0xbf167918, v69
	v_fmac_f32_e32 v38, 0x3e9e377a, v45
	;; [unrolled: 1-line block ×5, first 2 shown]
	s_waitcnt lgkmcnt(0)
	; wave barrier
	ds_write2_b64 v65, v[72:73], v[76:77] offset1:1
	ds_write2_b64 v65, v[80:81], v[78:79] offset0:2 offset1:3
	ds_write_b64 v65, v[74:75] offset:32
	s_and_saveexec_b64 s[2:3], vcc
	s_cbranch_execz .LBB0_17
; %bb.16:
	v_mul_f32_e32 v65, 0x3f737871, v29
	v_mul_f32_e32 v29, 0x3f737871, v69
	v_add_f32_e32 v31, v31, v33
	v_add_f32_e32 v30, v30, v32
	v_mul_f32_e32 v44, 0x3f167918, v44
	v_mul_f32_e32 v69, 0x3f167918, v70
	v_add_f32_e32 v29, v29, v68
	v_add_f32_e32 v31, v31, v35
	v_sub_f32_e32 v28, v28, v65
	v_add_f32_e32 v30, v30, v34
	v_mul_f32_e32 v45, 0x3e9e377a, v45
	v_mul_f32_e32 v70, 0x3e9e377a, v71
	v_add_f32_e32 v29, v69, v29
	v_add_f32_e32 v31, v31, v37
	v_sub_f32_e32 v28, v28, v44
	v_add_f32_e32 v30, v30, v36
	v_add_f32_e32 v29, v70, v29
	v_add_f32_e32 v31, v31, v47
	v_add_f32_e32 v28, v45, v28
	v_add_f32_e32 v30, v30, v46
	v_lshlrev_b32_e32 v32, 3, v66
	ds_write2_b64 v32, v[30:31], v[28:29] offset1:1
	ds_write2_b64 v32, v[40:41], v[42:43] offset0:2 offset1:3
	ds_write_b64 v32, v[38:39] offset:32
.LBB0_17:
	s_or_b64 exec, exec, s[2:3]
	s_waitcnt lgkmcnt(0)
	; wave barrier
	s_waitcnt lgkmcnt(0)
	ds_read2_b64 v[28:31], v63 offset1:50
	ds_read2_b64 v[32:35], v63 offset0:100 offset1:150
	ds_read2_b64 v[44:47], v63 offset0:200 offset1:250
	ds_read_b64 v[36:37], v63 offset:2400
	s_mov_b32 s3, 0x3f3bfb3b
	s_waitcnt lgkmcnt(3)
	v_mul_f32_e32 v65, v9, v31
	v_mul_f32_e32 v9, v9, v30
	v_fmac_f32_e32 v65, v8, v30
	v_fma_f32 v8, v8, v31, -v9
	s_waitcnt lgkmcnt(2)
	v_mul_f32_e32 v9, v11, v33
	v_mul_f32_e32 v11, v11, v32
	v_fmac_f32_e32 v9, v10, v32
	v_fma_f32 v10, v10, v33, -v11
	v_mul_f32_e32 v11, v5, v35
	v_mul_f32_e32 v5, v5, v34
	v_fmac_f32_e32 v11, v4, v34
	v_fma_f32 v4, v4, v35, -v5
	s_waitcnt lgkmcnt(1)
	v_mul_f32_e32 v5, v7, v45
	v_mul_f32_e32 v7, v7, v44
	v_fmac_f32_e32 v5, v6, v44
	v_fma_f32 v6, v6, v45, -v7
	;; [unrolled: 9-line block ×3, first 2 shown]
	v_add_f32_e32 v3, v65, v1
	v_add_f32_e32 v30, v8, v2
	v_sub_f32_e32 v2, v8, v2
	v_add_f32_e32 v8, v9, v7
	v_add_f32_e32 v31, v10, v0
	v_sub_f32_e32 v7, v9, v7
	v_sub_f32_e32 v0, v10, v0
	v_add_f32_e32 v9, v11, v5
	v_add_f32_e32 v10, v4, v6
	v_sub_f32_e32 v4, v6, v4
	v_add_f32_e32 v6, v8, v3
	v_sub_f32_e32 v5, v5, v11
	v_add_f32_e32 v11, v31, v30
	v_add_f32_e32 v6, v9, v6
	v_sub_f32_e32 v1, v65, v1
	v_sub_f32_e32 v32, v8, v3
	;; [unrolled: 1-line block ×4, first 2 shown]
	v_add_f32_e32 v34, v5, v7
	v_add_f32_e32 v35, v4, v0
	v_sub_f32_e32 v37, v4, v0
	v_sub_f32_e32 v44, v0, v2
	v_add_f32_e32 v9, v10, v11
	v_add_f32_e32 v0, v28, v6
	v_sub_f32_e32 v33, v31, v30
	v_sub_f32_e32 v30, v30, v10
	;; [unrolled: 1-line block ×6, first 2 shown]
	v_add_f32_e32 v10, v34, v1
	v_add_f32_e32 v1, v29, v9
	v_mul_f32_e32 v34, 0x3f08b237, v37
	v_mov_b32_e32 v37, v0
	v_mul_f32_e32 v28, 0x3d64c772, v8
	v_mul_f32_e32 v29, 0x3d64c772, v31
	v_fmac_f32_e32 v37, 0xbf955555, v6
	v_mov_b32_e32 v6, v1
	v_mul_f32_e32 v3, 0x3f4a47b2, v3
	v_mul_f32_e32 v11, 0x3f4a47b2, v30
	;; [unrolled: 1-line block ×3, first 2 shown]
	s_mov_b32 s2, 0xbf5ff5aa
	v_fmac_f32_e32 v6, 0xbf955555, v9
	v_fma_f32 v9, v32, s3, -v28
	v_fma_f32 v28, v33, s3, -v29
	s_mov_b32 s3, 0xbf3bfb3b
	v_sub_f32_e32 v4, v2, v4
	v_add_f32_e32 v2, v35, v2
	v_mul_f32_e32 v35, 0xbf5ff5aa, v7
	v_mul_f32_e32 v36, 0xbf5ff5aa, v44
	v_fma_f32 v29, v32, s3, -v3
	v_fmac_f32_e32 v3, 0x3d64c772, v8
	v_fma_f32 v8, v33, s3, -v11
	v_fmac_f32_e32 v11, 0x3d64c772, v31
	v_fma_f32 v7, v7, s2, -v30
	v_fma_f32 v31, v44, s2, -v34
	s_mov_b32 s2, 0x3eae86e6
	v_fmac_f32_e32 v30, 0xbeae86e6, v5
	v_fmac_f32_e32 v34, 0xbeae86e6, v4
	v_fma_f32 v32, v5, s2, -v35
	v_fma_f32 v33, v4, s2, -v36
	v_add_f32_e32 v35, v3, v37
	v_add_f32_e32 v36, v11, v6
	;; [unrolled: 1-line block ×6, first 2 shown]
	v_fmac_f32_e32 v30, 0xbee1c552, v10
	v_fmac_f32_e32 v34, 0xbee1c552, v2
	v_fmac_f32_e32 v7, 0xbee1c552, v10
	v_fmac_f32_e32 v31, 0xbee1c552, v2
	v_fmac_f32_e32 v32, 0xbee1c552, v10
	v_fmac_f32_e32 v33, 0xbee1c552, v2
	v_add_f32_e32 v2, v34, v35
	v_sub_f32_e32 v3, v36, v30
	v_add_f32_e32 v8, v33, v28
	v_sub_f32_e32 v9, v29, v32
	v_sub_f32_e32 v10, v4, v31
	v_add_f32_e32 v11, v7, v5
	v_add_f32_e32 v4, v31, v4
	v_sub_f32_e32 v5, v5, v7
	v_sub_f32_e32 v6, v28, v33
	v_add_f32_e32 v7, v32, v29
	v_sub_f32_e32 v28, v35, v34
	v_add_f32_e32 v29, v30, v36
	s_waitcnt lgkmcnt(0)
	; wave barrier
	ds_write2_b64 v67, v[0:1], v[2:3] offset1:5
	ds_write2_b64 v67, v[8:9], v[10:11] offset0:10 offset1:15
	ds_write2_b64 v67, v[4:5], v[6:7] offset0:20 offset1:25
	ds_write_b64 v67, v[28:29] offset:240
	s_waitcnt lgkmcnt(0)
	; wave barrier
	s_waitcnt lgkmcnt(0)
	s_and_saveexec_b64 s[2:3], s[0:1]
	s_cbranch_execz .LBB0_19
; %bb.18:
	ds_read2_b64 v[0:3], v63 offset1:35
	ds_read2_b64 v[28:31], v63 offset0:210 offset1:245
	v_add_u32_e32 v4, 0x800, v63
	ds_read2_b64 v[36:39], v4 offset0:24 offset1:59
	ds_read2_b64 v[8:11], v63 offset0:70 offset1:105
	;; [unrolled: 1-line block ×3, first 2 shown]
	s_waitcnt lgkmcnt(2)
	v_mov_b32_e32 v42, v36
	v_mov_b32_e32 v40, v30
	v_mov_b32_e32 v41, v31
	v_mov_b32_e32 v43, v37
.LBB0_19:
	s_or_b64 exec, exec, s[2:3]
	s_and_saveexec_b64 s[2:3], s[0:1]
	s_cbranch_execz .LBB0_21
; %bb.20:
	s_waitcnt lgkmcnt(1)
	v_mul_f32_e32 v30, v15, v8
	v_fma_f32 v30, v14, v9, -v30
	v_mul_f32_e32 v9, v15, v9
	v_mul_f32_e32 v33, v19, v42
	v_fmac_f32_e32 v9, v14, v8
	v_mul_f32_e32 v14, v19, v43
	s_waitcnt lgkmcnt(0)
	v_mul_f32_e32 v31, v27, v4
	v_fma_f32 v33, v18, v43, -v33
	v_mul_f32_e32 v34, v23, v28
	v_fmac_f32_e32 v14, v18, v42
	v_mul_f32_e32 v18, v27, v5
	v_mul_f32_e32 v19, v23, v29
	v_fma_f32 v31, v26, v5, -v31
	v_fma_f32 v34, v22, v29, -v34
	v_fmac_f32_e32 v18, v26, v4
	v_fmac_f32_e32 v19, v22, v28
	v_mul_f32_e32 v22, v25, v11
	v_mul_f32_e32 v23, v21, v7
	;; [unrolled: 1-line block ×4, first 2 shown]
	v_fmac_f32_e32 v22, v24, v10
	v_fmac_f32_e32 v23, v20, v6
	;; [unrolled: 1-line block ×4, first 2 shown]
	v_sub_f32_e32 v4, v22, v23
	v_sub_f32_e32 v28, v26, v27
	v_mul_f32_e32 v29, v13, v3
	v_add_f32_e32 v28, v4, v28
	v_fmac_f32_e32 v29, v12, v2
	v_add_f32_e32 v4, v23, v27
	v_fma_f32 v36, -0.5, v4, v29
	v_mul_f32_e32 v4, v25, v10
	v_fma_f32 v10, v24, v11, -v4
	v_mul_f32_e32 v4, v62, v38
	v_fma_f32 v11, v61, v39, -v4
	;; [unrolled: 2-line block ×4, first 2 shown]
	v_sub_f32_e32 v4, v10, v7
	v_sub_f32_e32 v6, v11, v16
	v_add_f32_e32 v20, v4, v6
	v_sub_f32_e32 v4, v31, v30
	v_sub_f32_e32 v6, v34, v33
	v_sub_f32_e32 v32, v30, v31
	v_sub_f32_e32 v35, v33, v34
	v_add_f32_e32 v6, v6, v4
	v_add_f32_e32 v4, v33, v30
	;; [unrolled: 1-line block ×4, first 2 shown]
	v_fma_f32 v39, -0.5, v4, v1
	v_sub_f32_e32 v4, v23, v22
	v_sub_f32_e32 v41, v27, v26
	v_fma_f32 v35, -0.5, v35, v1
	v_add_f32_e32 v41, v4, v41
	v_add_f32_e32 v4, v22, v26
	;; [unrolled: 1-line block ×3, first 2 shown]
	v_sub_f32_e32 v24, v10, v11
	v_mov_b32_e32 v25, v36
	v_mul_f32_e32 v2, v13, v2
	v_fma_f32 v42, -0.5, v4, v29
	v_add_f32_e32 v1, v31, v1
	v_fmac_f32_e32 v25, 0x3f737871, v24
	v_sub_f32_e32 v17, v7, v16
	v_fma_f32 v3, v12, v3, -v2
	v_add_f32_e32 v2, v7, v16
	v_mov_b32_e32 v43, v42
	v_fmac_f32_e32 v36, 0xbf737871, v24
	v_add_f32_e32 v1, v34, v1
	v_fmac_f32_e32 v25, 0x3f167918, v17
	v_fma_f32 v12, -0.5, v2, v3
	v_fmac_f32_e32 v43, 0xbf737871, v17
	v_fmac_f32_e32 v42, 0x3f737871, v17
	v_fmac_f32_e32 v36, 0xbf167918, v17
	v_add_f32_e32 v17, v33, v1
	v_add_f32_e32 v1, v10, v3
	v_sub_f32_e32 v13, v22, v26
	v_mov_b32_e32 v21, v12
	v_sub_f32_e32 v4, v7, v10
	v_sub_f32_e32 v44, v16, v11
	v_add_f32_e32 v1, v7, v1
	v_sub_f32_e32 v8, v9, v14
	v_mov_b32_e32 v15, v35
	v_fmac_f32_e32 v21, 0xbf737871, v13
	v_sub_f32_e32 v37, v23, v27
	v_add_f32_e32 v44, v4, v44
	v_add_f32_e32 v4, v10, v11
	;; [unrolled: 1-line block ×3, first 2 shown]
	v_fmac_f32_e32 v15, 0xbf737871, v8
	v_sub_f32_e32 v5, v18, v19
	v_fmac_f32_e32 v21, 0xbf167918, v37
	v_mov_b32_e32 v40, v39
	v_fma_f32 v45, -0.5, v4, v3
	v_fmac_f32_e32 v35, 0x3f737871, v8
	v_add_f32_e32 v11, v11, v1
	v_sub_f32_e32 v1, v9, v18
	v_sub_f32_e32 v3, v14, v19
	v_fmac_f32_e32 v15, 0xbf167918, v5
	v_fmac_f32_e32 v21, 0x3e9e377a, v20
	;; [unrolled: 1-line block ×5, first 2 shown]
	v_add_f32_e32 v7, v3, v1
	v_sub_f32_e32 v3, v18, v9
	v_sub_f32_e32 v5, v19, v14
	v_fmac_f32_e32 v25, 0x3e9e377a, v28
	v_mul_f32_e32 v38, 0xbf4f1bbd, v21
	v_mov_b32_e32 v46, v45
	v_fmac_f32_e32 v12, 0x3f737871, v13
	v_add_f32_e32 v1, v19, v18
	v_mul_f32_e32 v21, 0xbf167918, v21
	v_add_f32_e32 v5, v5, v3
	v_add_f32_e32 v3, v14, v9
	v_fmac_f32_e32 v38, 0x3f167918, v25
	v_fmac_f32_e32 v43, 0x3f167918, v24
	;; [unrolled: 1-line block ×5, first 2 shown]
	v_fma_f32 v24, -0.5, v1, v0
	v_fmac_f32_e32 v21, 0xbf4f1bbd, v25
	v_fma_f32 v25, -0.5, v3, v0
	v_fmac_f32_e32 v46, 0xbf167918, v13
	v_fmac_f32_e32 v45, 0xbf737871, v37
	;; [unrolled: 1-line block ×4, first 2 shown]
	v_sub_f32_e32 v16, v30, v33
	v_mov_b32_e32 v28, v24
	v_sub_f32_e32 v20, v31, v34
	v_mov_b32_e32 v30, v25
	v_add_f32_e32 v0, v9, v0
	v_add_f32_e32 v9, v22, v29
	v_fmac_f32_e32 v46, 0x3e9e377a, v44
	v_fmac_f32_e32 v45, 0x3f167918, v13
	v_fmac_f32_e32 v28, 0x3f737871, v16
	v_fmac_f32_e32 v30, 0xbf737871, v20
	v_fmac_f32_e32 v24, 0xbf737871, v16
	v_add_f32_e32 v0, v18, v0
	v_add_f32_e32 v9, v23, v9
	v_fmac_f32_e32 v40, 0xbf167918, v8
	v_fmac_f32_e32 v43, 0x3e9e377a, v41
	v_mul_f32_e32 v47, 0xbe9e377a, v46
	v_fmac_f32_e32 v45, 0x3e9e377a, v44
	v_mul_f32_e32 v13, 0x3f4f1bbd, v12
	v_fmac_f32_e32 v28, 0x3f167918, v20
	v_fmac_f32_e32 v30, 0x3f167918, v16
	v_mul_f32_e32 v31, 0xbf737871, v46
	v_fmac_f32_e32 v25, 0x3f737871, v20
	v_fmac_f32_e32 v24, 0xbf167918, v20
	v_mul_f32_e32 v33, 0xbf167918, v12
	v_add_f32_e32 v0, v19, v0
	v_add_f32_e32 v9, v27, v9
	v_fmac_f32_e32 v15, 0x3e9e377a, v32
	v_fmac_f32_e32 v40, 0x3e9e377a, v6
	;; [unrolled: 1-line block ×5, first 2 shown]
	v_mul_f32_e32 v41, 0x3e9e377a, v45
	v_fmac_f32_e32 v35, 0x3e9e377a, v32
	v_fmac_f32_e32 v13, 0x3f167918, v36
	;; [unrolled: 1-line block ×6, first 2 shown]
	v_mul_f32_e32 v32, 0xbf737871, v45
	v_fmac_f32_e32 v24, 0x3e9e377a, v7
	v_fmac_f32_e32 v33, 0x3f4f1bbd, v36
	v_add_f32_e32 v0, v14, v0
	v_add_f32_e32 v19, v26, v9
	v_sub_f32_e32 v2, v15, v38
	v_sub_f32_e32 v4, v40, v47
	v_fmac_f32_e32 v39, 0x3e9e377a, v6
	v_fmac_f32_e32 v41, 0x3f737871, v42
	v_sub_f32_e32 v10, v17, v11
	v_sub_f32_e32 v1, v28, v21
	v_sub_f32_e32 v3, v30, v31
	v_fmac_f32_e32 v25, 0x3e9e377a, v5
	v_fmac_f32_e32 v32, 0x3e9e377a, v42
	v_sub_f32_e32 v9, v0, v19
	v_add_f32_e32 v18, v35, v13
	v_add_f32_e32 v20, v17, v11
	;; [unrolled: 1-line block ×4, first 2 shown]
	v_add_u32_e32 v0, 0x800, v63
	v_sub_f32_e32 v6, v39, v41
	v_sub_f32_e32 v8, v35, v13
	;; [unrolled: 1-line block ×4, first 2 shown]
	v_add_f32_e32 v12, v15, v38
	v_add_f32_e32 v14, v40, v47
	;; [unrolled: 1-line block ×6, first 2 shown]
	ds_write2_b64 v63, v[19:20], v[17:18] offset1:35
	ds_write2_b64 v63, v[15:16], v[13:14] offset0:70 offset1:105
	ds_write2_b64 v63, v[11:12], v[9:10] offset0:140 offset1:175
	;; [unrolled: 1-line block ×4, first 2 shown]
.LBB0_21:
	s_or_b64 exec, exec, s[2:3]
	s_waitcnt lgkmcnt(0)
	; wave barrier
	s_waitcnt lgkmcnt(0)
	ds_read2_b64 v[0:3], v63 offset1:70
	s_mov_b32 s2, 0xe434a9b1
	s_mov_b32 s3, 0x3f6767dc
	v_mad_u64_u32 v[4:5], s[0:1], s10, v50, 0
	s_waitcnt lgkmcnt(0)
	v_mul_f32_e32 v6, v58, v1
	v_fmac_f32_e32 v6, v57, v0
	v_cvt_f64_f32_e32 v[6:7], v6
	v_mul_f32_e32 v0, v58, v0
	v_fma_f32 v0, v57, v1, -v0
	v_cvt_f64_f32_e32 v[0:1], v0
	v_mul_f64 v[6:7], v[6:7], s[2:3]
	v_mad_u64_u32 v[8:9], s[0:1], s8, v64, 0
	v_mul_f64 v[0:1], v[0:1], s[2:3]
	v_mad_u64_u32 v[10:11], s[0:1], s11, v50, v[5:6]
	v_mov_b32_e32 v5, v9
	v_mad_u64_u32 v[11:12], s[0:1], s9, v64, v[5:6]
	v_mov_b32_e32 v5, v10
	v_cvt_f32_f64_e32 v6, v[6:7]
	v_cvt_f32_f64_e32 v7, v[0:1]
	v_lshlrev_b64 v[0:1], 3, v[4:5]
	v_mul_f32_e32 v4, v60, v3
	v_fmac_f32_e32 v4, v59, v2
	v_cvt_f64_f32_e32 v[4:5], v4
	v_mov_b32_e32 v9, v11
	v_mov_b32_e32 v10, s7
	v_mul_f32_e32 v2, v60, v2
	v_add_co_u32_e64 v11, s[0:1], s6, v0
	v_fma_f32 v2, v59, v3, -v2
	v_addc_co_u32_e64 v10, s[0:1], v10, v1, s[0:1]
	v_mul_f64 v[0:1], v[4:5], s[2:3]
	v_cvt_f64_f32_e32 v[2:3], v2
	v_lshlrev_b64 v[4:5], 3, v[8:9]
	v_add_co_u32_e64 v4, s[0:1], v11, v4
	v_mul_f64 v[8:9], v[2:3], s[2:3]
	v_addc_co_u32_e64 v5, s[0:1], v10, v5, s[0:1]
	global_store_dwordx2 v[4:5], v[6:7], off
	v_cvt_f32_f64_e32 v6, v[0:1]
	ds_read2_b64 v[0:3], v63 offset0:140 offset1:210
	s_mul_i32 s0, s9, 0x46
	s_mul_hi_u32 s1, s8, 0x46
	v_cvt_f32_f64_e32 v7, v[8:9]
	s_add_i32 s1, s1, s0
	s_waitcnt lgkmcnt(0)
	v_mul_f32_e32 v8, v56, v1
	v_fmac_f32_e32 v8, v55, v0
	v_cvt_f64_f32_e32 v[8:9], v8
	v_mul_f32_e32 v0, v56, v0
	v_fma_f32 v0, v55, v1, -v0
	v_cvt_f64_f32_e32 v[0:1], v0
	v_mul_f64 v[8:9], v[8:9], s[2:3]
	s_mul_i32 s0, s8, 0x46
	s_lshl_b64 s[4:5], s[0:1], 3
	v_mul_f64 v[0:1], v[0:1], s[2:3]
	v_mov_b32_e32 v12, s5
	v_add_co_u32_e64 v4, s[0:1], s4, v4
	v_addc_co_u32_e64 v5, s[0:1], v5, v12, s[0:1]
	global_store_dwordx2 v[4:5], v[6:7], off
	v_cvt_f32_f64_e32 v6, v[8:9]
	ds_read_b64 v[8:9], v63 offset:2240
	v_cvt_f32_f64_e32 v7, v[0:1]
	v_mul_f32_e32 v0, v54, v3
	v_fmac_f32_e32 v0, v53, v2
	v_mul_f32_e32 v2, v54, v2
	v_fma_f32 v2, v53, v3, -v2
	s_waitcnt lgkmcnt(0)
	v_mul_f32_e32 v10, v52, v9
	v_cvt_f64_f32_e32 v[0:1], v0
	v_cvt_f64_f32_e32 v[2:3], v2
	v_fmac_f32_e32 v10, v51, v8
	v_mul_f32_e32 v8, v52, v8
	v_fma_f32 v8, v51, v9, -v8
	v_cvt_f64_f32_e32 v[10:11], v10
	v_cvt_f64_f32_e32 v[8:9], v8
	v_add_co_u32_e64 v4, s[0:1], s4, v4
	v_mul_f64 v[0:1], v[0:1], s[2:3]
	v_mul_f64 v[2:3], v[2:3], s[2:3]
	v_addc_co_u32_e64 v5, s[0:1], v5, v12, s[0:1]
	global_store_dwordx2 v[4:5], v[6:7], off
	v_mul_f64 v[6:7], v[10:11], s[2:3]
	v_mul_f64 v[8:9], v[8:9], s[2:3]
	v_cvt_f32_f64_e32 v0, v[0:1]
	v_cvt_f32_f64_e32 v1, v[2:3]
	v_add_co_u32_e64 v2, s[0:1], s4, v4
	v_addc_co_u32_e64 v3, s[0:1], v5, v12, s[0:1]
	v_cvt_f32_f64_e32 v4, v[6:7]
	v_cvt_f32_f64_e32 v5, v[8:9]
	global_store_dwordx2 v[2:3], v[0:1], off
	v_add_co_u32_e64 v0, s[0:1], s4, v2
	v_addc_co_u32_e64 v1, s[0:1], v3, v12, s[0:1]
	global_store_dwordx2 v[0:1], v[4:5], off
	s_and_b64 exec, exec, vcc
	s_cbranch_execz .LBB0_23
; %bb.22:
	global_load_dwordx2 v[10:11], v[48:49], off offset:400
	global_load_dwordx2 v[12:13], v[48:49], off offset:960
	global_load_dwordx2 v[14:15], v[48:49], off offset:1520
	global_load_dwordx2 v[16:17], v[48:49], off offset:2080
	global_load_dwordx2 v[18:19], v[48:49], off offset:2640
	ds_read2_b64 v[2:5], v63 offset0:50 offset1:120
	v_mov_b32_e32 v6, 0xfffff8d0
	v_add_u32_e32 v7, 0x400, v63
	v_mad_u64_u32 v[0:1], s[0:1], s8, v6, v[0:1]
	ds_read2_b64 v[6:9], v7 offset0:62 offset1:132
	ds_read_b64 v[20:21], v63 offset:2640
	s_mul_i32 s6, s9, 0xfffff8d0
	s_sub_i32 s0, s6, s8
	v_mov_b32_e32 v29, s5
	v_add_u32_e32 v1, s0, v1
	v_add_co_u32_e32 v22, vcc, s4, v0
	v_addc_co_u32_e32 v23, vcc, v1, v29, vcc
	v_add_co_u32_e32 v24, vcc, s4, v22
	v_addc_co_u32_e32 v25, vcc, v23, v29, vcc
	;; [unrolled: 2-line block ×4, first 2 shown]
	s_waitcnt vmcnt(4) lgkmcnt(2)
	v_mul_f32_e32 v30, v3, v11
	v_mul_f32_e32 v11, v2, v11
	s_waitcnt vmcnt(3)
	v_mul_f32_e32 v31, v5, v13
	v_mul_f32_e32 v13, v4, v13
	v_fmac_f32_e32 v30, v2, v10
	v_fma_f32 v10, v10, v3, -v11
	s_waitcnt vmcnt(2) lgkmcnt(1)
	v_mul_f32_e32 v32, v7, v15
	v_mul_f32_e32 v15, v6, v15
	s_waitcnt vmcnt(1)
	v_mul_f32_e32 v33, v9, v17
	v_mul_f32_e32 v17, v8, v17
	v_fmac_f32_e32 v31, v4, v12
	v_fma_f32 v11, v12, v5, -v13
	v_cvt_f64_f32_e32 v[2:3], v30
	v_cvt_f64_f32_e32 v[4:5], v10
	v_fmac_f32_e32 v32, v6, v14
	v_fma_f32 v12, v14, v7, -v15
	v_fmac_f32_e32 v33, v8, v16
	v_fma_f32 v16, v16, v9, -v17
	v_cvt_f64_f32_e32 v[6:7], v31
	v_cvt_f64_f32_e32 v[8:9], v11
	s_waitcnt vmcnt(0) lgkmcnt(0)
	v_mul_f32_e32 v34, v21, v19
	v_mul_f32_e32 v19, v20, v19
	v_cvt_f64_f32_e32 v[10:11], v32
	v_cvt_f64_f32_e32 v[12:13], v12
	v_fmac_f32_e32 v34, v20, v18
	v_fma_f32 v20, v18, v21, -v19
	v_cvt_f64_f32_e32 v[14:15], v33
	v_cvt_f64_f32_e32 v[16:17], v16
	;; [unrolled: 1-line block ×4, first 2 shown]
	v_mul_f64 v[2:3], v[2:3], s[2:3]
	v_mul_f64 v[4:5], v[4:5], s[2:3]
	;; [unrolled: 1-line block ×10, first 2 shown]
	v_cvt_f32_f64_e32 v2, v[2:3]
	v_cvt_f32_f64_e32 v3, v[4:5]
	;; [unrolled: 1-line block ×10, first 2 shown]
	global_store_dwordx2 v[0:1], v[2:3], off
	global_store_dwordx2 v[22:23], v[4:5], off
	;; [unrolled: 1-line block ×5, first 2 shown]
.LBB0_23:
	s_endpgm
	.section	.rodata,"a",@progbits
	.p2align	6, 0x0
	.amdhsa_kernel bluestein_single_fwd_len350_dim1_sp_op_CI_CI
		.amdhsa_group_segment_fixed_size 2800
		.amdhsa_private_segment_fixed_size 0
		.amdhsa_kernarg_size 104
		.amdhsa_user_sgpr_count 6
		.amdhsa_user_sgpr_private_segment_buffer 1
		.amdhsa_user_sgpr_dispatch_ptr 0
		.amdhsa_user_sgpr_queue_ptr 0
		.amdhsa_user_sgpr_kernarg_segment_ptr 1
		.amdhsa_user_sgpr_dispatch_id 0
		.amdhsa_user_sgpr_flat_scratch_init 0
		.amdhsa_user_sgpr_private_segment_size 0
		.amdhsa_uses_dynamic_stack 0
		.amdhsa_system_sgpr_private_segment_wavefront_offset 0
		.amdhsa_system_sgpr_workgroup_id_x 1
		.amdhsa_system_sgpr_workgroup_id_y 0
		.amdhsa_system_sgpr_workgroup_id_z 0
		.amdhsa_system_sgpr_workgroup_info 0
		.amdhsa_system_vgpr_workitem_id 0
		.amdhsa_next_free_vgpr 86
		.amdhsa_next_free_sgpr 18
		.amdhsa_reserve_vcc 1
		.amdhsa_reserve_flat_scratch 0
		.amdhsa_float_round_mode_32 0
		.amdhsa_float_round_mode_16_64 0
		.amdhsa_float_denorm_mode_32 3
		.amdhsa_float_denorm_mode_16_64 3
		.amdhsa_dx10_clamp 1
		.amdhsa_ieee_mode 1
		.amdhsa_fp16_overflow 0
		.amdhsa_exception_fp_ieee_invalid_op 0
		.amdhsa_exception_fp_denorm_src 0
		.amdhsa_exception_fp_ieee_div_zero 0
		.amdhsa_exception_fp_ieee_overflow 0
		.amdhsa_exception_fp_ieee_underflow 0
		.amdhsa_exception_fp_ieee_inexact 0
		.amdhsa_exception_int_div_zero 0
	.end_amdhsa_kernel
	.text
.Lfunc_end0:
	.size	bluestein_single_fwd_len350_dim1_sp_op_CI_CI, .Lfunc_end0-bluestein_single_fwd_len350_dim1_sp_op_CI_CI
                                        ; -- End function
	.section	.AMDGPU.csdata,"",@progbits
; Kernel info:
; codeLenInByte = 8172
; NumSgprs: 22
; NumVgprs: 86
; ScratchSize: 0
; MemoryBound: 0
; FloatMode: 240
; IeeeMode: 1
; LDSByteSize: 2800 bytes/workgroup (compile time only)
; SGPRBlocks: 2
; VGPRBlocks: 21
; NumSGPRsForWavesPerEU: 22
; NumVGPRsForWavesPerEU: 86
; Occupancy: 2
; WaveLimiterHint : 1
; COMPUTE_PGM_RSRC2:SCRATCH_EN: 0
; COMPUTE_PGM_RSRC2:USER_SGPR: 6
; COMPUTE_PGM_RSRC2:TRAP_HANDLER: 0
; COMPUTE_PGM_RSRC2:TGID_X_EN: 1
; COMPUTE_PGM_RSRC2:TGID_Y_EN: 0
; COMPUTE_PGM_RSRC2:TGID_Z_EN: 0
; COMPUTE_PGM_RSRC2:TIDIG_COMP_CNT: 0
	.type	__hip_cuid_44804afdbc5180a7,@object ; @__hip_cuid_44804afdbc5180a7
	.section	.bss,"aw",@nobits
	.globl	__hip_cuid_44804afdbc5180a7
__hip_cuid_44804afdbc5180a7:
	.byte	0                               ; 0x0
	.size	__hip_cuid_44804afdbc5180a7, 1

	.ident	"AMD clang version 19.0.0git (https://github.com/RadeonOpenCompute/llvm-project roc-6.4.0 25133 c7fe45cf4b819c5991fe208aaa96edf142730f1d)"
	.section	".note.GNU-stack","",@progbits
	.addrsig
	.addrsig_sym __hip_cuid_44804afdbc5180a7
	.amdgpu_metadata
---
amdhsa.kernels:
  - .args:
      - .actual_access:  read_only
        .address_space:  global
        .offset:         0
        .size:           8
        .value_kind:     global_buffer
      - .actual_access:  read_only
        .address_space:  global
        .offset:         8
        .size:           8
        .value_kind:     global_buffer
      - .actual_access:  read_only
        .address_space:  global
        .offset:         16
        .size:           8
        .value_kind:     global_buffer
      - .actual_access:  read_only
        .address_space:  global
        .offset:         24
        .size:           8
        .value_kind:     global_buffer
      - .actual_access:  read_only
        .address_space:  global
        .offset:         32
        .size:           8
        .value_kind:     global_buffer
      - .offset:         40
        .size:           8
        .value_kind:     by_value
      - .address_space:  global
        .offset:         48
        .size:           8
        .value_kind:     global_buffer
      - .address_space:  global
        .offset:         56
        .size:           8
        .value_kind:     global_buffer
      - .address_space:  global
        .offset:         64
        .size:           8
        .value_kind:     global_buffer
      - .address_space:  global
        .offset:         72
        .size:           8
        .value_kind:     global_buffer
      - .offset:         80
        .size:           4
        .value_kind:     by_value
      - .address_space:  global
        .offset:         88
        .size:           8
        .value_kind:     global_buffer
      - .address_space:  global
        .offset:         96
        .size:           8
        .value_kind:     global_buffer
    .group_segment_fixed_size: 2800
    .kernarg_segment_align: 8
    .kernarg_segment_size: 104
    .language:       OpenCL C
    .language_version:
      - 2
      - 0
    .max_flat_workgroup_size: 50
    .name:           bluestein_single_fwd_len350_dim1_sp_op_CI_CI
    .private_segment_fixed_size: 0
    .sgpr_count:     22
    .sgpr_spill_count: 0
    .symbol:         bluestein_single_fwd_len350_dim1_sp_op_CI_CI.kd
    .uniform_work_group_size: 1
    .uses_dynamic_stack: false
    .vgpr_count:     86
    .vgpr_spill_count: 0
    .wavefront_size: 64
amdhsa.target:   amdgcn-amd-amdhsa--gfx906
amdhsa.version:
  - 1
  - 2
...

	.end_amdgpu_metadata
